;; amdgpu-corpus repo=ROCm/rocFFT kind=compiled arch=gfx906 opt=O3
	.text
	.amdgcn_target "amdgcn-amd-amdhsa--gfx906"
	.amdhsa_code_object_version 6
	.protected	fft_rtc_fwd_len34_factors_17_2_wgs_255_tpt_17_halfLds_half_ip_CI_unitstride_sbrr_C2R_dirReg ; -- Begin function fft_rtc_fwd_len34_factors_17_2_wgs_255_tpt_17_halfLds_half_ip_CI_unitstride_sbrr_C2R_dirReg
	.globl	fft_rtc_fwd_len34_factors_17_2_wgs_255_tpt_17_halfLds_half_ip_CI_unitstride_sbrr_C2R_dirReg
	.p2align	8
	.type	fft_rtc_fwd_len34_factors_17_2_wgs_255_tpt_17_halfLds_half_ip_CI_unitstride_sbrr_C2R_dirReg,@function
fft_rtc_fwd_len34_factors_17_2_wgs_255_tpt_17_halfLds_half_ip_CI_unitstride_sbrr_C2R_dirReg: ; @fft_rtc_fwd_len34_factors_17_2_wgs_255_tpt_17_halfLds_half_ip_CI_unitstride_sbrr_C2R_dirReg
; %bb.0:
	s_load_dwordx2 s[2:3], s[4:5], 0x50
	s_load_dwordx4 s[8:11], s[4:5], 0x0
	s_load_dwordx2 s[12:13], s[4:5], 0x18
	v_mul_u32_u24_e32 v1, 0xf10, v0
	v_lshrrev_b32_e32 v1, 16, v1
	v_mad_u64_u32 v[1:2], s[0:1], s6, 15, v[1:2]
	v_mov_b32_e32 v5, 0
	s_waitcnt lgkmcnt(0)
	v_cmp_lt_u64_e64 s[0:1], s[10:11], 2
	v_mov_b32_e32 v2, v5
	v_mov_b32_e32 v3, 0
	;; [unrolled: 1-line block ×3, first 2 shown]
	s_and_b64 vcc, exec, s[0:1]
	v_mov_b32_e32 v4, 0
	v_mov_b32_e32 v9, v1
	s_cbranch_vccnz .LBB0_8
; %bb.1:
	s_load_dwordx2 s[0:1], s[4:5], 0x10
	s_add_u32 s6, s12, 8
	s_addc_u32 s7, s13, 0
	v_mov_b32_e32 v3, 0
	v_mov_b32_e32 v8, v2
	s_waitcnt lgkmcnt(0)
	s_add_u32 s16, s0, 8
	s_mov_b64 s[14:15], 1
	v_mov_b32_e32 v4, 0
	s_addc_u32 s17, s1, 0
	v_mov_b32_e32 v7, v1
.LBB0_2:                                ; =>This Inner Loop Header: Depth=1
	s_load_dwordx2 s[18:19], s[16:17], 0x0
                                        ; implicit-def: $vgpr9_vgpr10
	s_waitcnt lgkmcnt(0)
	v_or_b32_e32 v6, s19, v8
	v_cmp_ne_u64_e32 vcc, 0, v[5:6]
	s_and_saveexec_b64 s[0:1], vcc
	s_xor_b64 s[20:21], exec, s[0:1]
	s_cbranch_execz .LBB0_4
; %bb.3:                                ;   in Loop: Header=BB0_2 Depth=1
	v_cvt_f32_u32_e32 v2, s18
	v_cvt_f32_u32_e32 v6, s19
	s_sub_u32 s0, 0, s18
	s_subb_u32 s1, 0, s19
	v_mac_f32_e32 v2, 0x4f800000, v6
	v_rcp_f32_e32 v2, v2
	v_mul_f32_e32 v2, 0x5f7ffffc, v2
	v_mul_f32_e32 v6, 0x2f800000, v2
	v_trunc_f32_e32 v6, v6
	v_mac_f32_e32 v2, 0xcf800000, v6
	v_cvt_u32_f32_e32 v6, v6
	v_cvt_u32_f32_e32 v2, v2
	v_mul_lo_u32 v9, s0, v6
	v_mul_hi_u32 v10, s0, v2
	v_mul_lo_u32 v12, s1, v2
	v_mul_lo_u32 v11, s0, v2
	v_add_u32_e32 v9, v10, v9
	v_add_u32_e32 v9, v9, v12
	v_mul_hi_u32 v10, v2, v11
	v_mul_lo_u32 v12, v2, v9
	v_mul_hi_u32 v14, v2, v9
	v_mul_hi_u32 v13, v6, v11
	v_mul_lo_u32 v11, v6, v11
	v_mul_hi_u32 v15, v6, v9
	v_add_co_u32_e32 v10, vcc, v10, v12
	v_addc_co_u32_e32 v12, vcc, 0, v14, vcc
	v_mul_lo_u32 v9, v6, v9
	v_add_co_u32_e32 v10, vcc, v10, v11
	v_addc_co_u32_e32 v10, vcc, v12, v13, vcc
	v_addc_co_u32_e32 v11, vcc, 0, v15, vcc
	v_add_co_u32_e32 v9, vcc, v10, v9
	v_addc_co_u32_e32 v10, vcc, 0, v11, vcc
	v_add_co_u32_e32 v2, vcc, v2, v9
	v_addc_co_u32_e32 v6, vcc, v6, v10, vcc
	v_mul_lo_u32 v9, s0, v6
	v_mul_hi_u32 v10, s0, v2
	v_mul_lo_u32 v11, s1, v2
	v_mul_lo_u32 v12, s0, v2
	v_add_u32_e32 v9, v10, v9
	v_add_u32_e32 v9, v9, v11
	v_mul_lo_u32 v13, v2, v9
	v_mul_hi_u32 v14, v2, v12
	v_mul_hi_u32 v15, v2, v9
	;; [unrolled: 1-line block ×3, first 2 shown]
	v_mul_lo_u32 v12, v6, v12
	v_mul_hi_u32 v10, v6, v9
	v_add_co_u32_e32 v13, vcc, v14, v13
	v_addc_co_u32_e32 v14, vcc, 0, v15, vcc
	v_mul_lo_u32 v9, v6, v9
	v_add_co_u32_e32 v12, vcc, v13, v12
	v_addc_co_u32_e32 v11, vcc, v14, v11, vcc
	v_addc_co_u32_e32 v10, vcc, 0, v10, vcc
	v_add_co_u32_e32 v9, vcc, v11, v9
	v_addc_co_u32_e32 v10, vcc, 0, v10, vcc
	v_add_co_u32_e32 v2, vcc, v2, v9
	v_addc_co_u32_e32 v6, vcc, v6, v10, vcc
	v_mad_u64_u32 v[9:10], s[0:1], v7, v6, 0
	v_mul_hi_u32 v11, v7, v2
	v_add_co_u32_e32 v13, vcc, v11, v9
	v_addc_co_u32_e32 v14, vcc, 0, v10, vcc
	v_mad_u64_u32 v[9:10], s[0:1], v8, v2, 0
	v_mad_u64_u32 v[11:12], s[0:1], v8, v6, 0
	v_add_co_u32_e32 v2, vcc, v13, v9
	v_addc_co_u32_e32 v2, vcc, v14, v10, vcc
	v_addc_co_u32_e32 v6, vcc, 0, v12, vcc
	v_add_co_u32_e32 v2, vcc, v2, v11
	v_addc_co_u32_e32 v6, vcc, 0, v6, vcc
	v_mul_lo_u32 v11, s19, v2
	v_mul_lo_u32 v12, s18, v6
	v_mad_u64_u32 v[9:10], s[0:1], s18, v2, 0
	v_add3_u32 v10, v10, v12, v11
	v_sub_u32_e32 v11, v8, v10
	v_mov_b32_e32 v12, s19
	v_sub_co_u32_e32 v9, vcc, v7, v9
	v_subb_co_u32_e64 v11, s[0:1], v11, v12, vcc
	v_subrev_co_u32_e64 v12, s[0:1], s18, v9
	v_subbrev_co_u32_e64 v11, s[0:1], 0, v11, s[0:1]
	v_cmp_le_u32_e64 s[0:1], s19, v11
	v_cndmask_b32_e64 v13, 0, -1, s[0:1]
	v_cmp_le_u32_e64 s[0:1], s18, v12
	v_cndmask_b32_e64 v12, 0, -1, s[0:1]
	v_cmp_eq_u32_e64 s[0:1], s19, v11
	v_cndmask_b32_e64 v11, v13, v12, s[0:1]
	v_add_co_u32_e64 v12, s[0:1], 2, v2
	v_addc_co_u32_e64 v13, s[0:1], 0, v6, s[0:1]
	v_add_co_u32_e64 v14, s[0:1], 1, v2
	v_addc_co_u32_e64 v15, s[0:1], 0, v6, s[0:1]
	v_subb_co_u32_e32 v10, vcc, v8, v10, vcc
	v_cmp_ne_u32_e64 s[0:1], 0, v11
	v_cmp_le_u32_e32 vcc, s19, v10
	v_cndmask_b32_e64 v11, v15, v13, s[0:1]
	v_cndmask_b32_e64 v13, 0, -1, vcc
	v_cmp_le_u32_e32 vcc, s18, v9
	v_cndmask_b32_e64 v9, 0, -1, vcc
	v_cmp_eq_u32_e32 vcc, s19, v10
	v_cndmask_b32_e32 v9, v13, v9, vcc
	v_cmp_ne_u32_e32 vcc, 0, v9
	v_cndmask_b32_e32 v10, v6, v11, vcc
	v_cndmask_b32_e64 v6, v14, v12, s[0:1]
	v_cndmask_b32_e32 v9, v2, v6, vcc
.LBB0_4:                                ;   in Loop: Header=BB0_2 Depth=1
	s_andn2_saveexec_b64 s[0:1], s[20:21]
	s_cbranch_execz .LBB0_6
; %bb.5:                                ;   in Loop: Header=BB0_2 Depth=1
	v_cvt_f32_u32_e32 v2, s18
	s_sub_i32 s20, 0, s18
	v_rcp_iflag_f32_e32 v2, v2
	v_mul_f32_e32 v2, 0x4f7ffffe, v2
	v_cvt_u32_f32_e32 v2, v2
	v_mul_lo_u32 v6, s20, v2
	v_mul_hi_u32 v6, v2, v6
	v_add_u32_e32 v2, v2, v6
	v_mul_hi_u32 v2, v7, v2
	v_mul_lo_u32 v6, v2, s18
	v_add_u32_e32 v9, 1, v2
	v_sub_u32_e32 v6, v7, v6
	v_subrev_u32_e32 v10, s18, v6
	v_cmp_le_u32_e32 vcc, s18, v6
	v_cndmask_b32_e32 v6, v6, v10, vcc
	v_cndmask_b32_e32 v2, v2, v9, vcc
	v_add_u32_e32 v9, 1, v2
	v_cmp_le_u32_e32 vcc, s18, v6
	v_cndmask_b32_e32 v9, v2, v9, vcc
	v_mov_b32_e32 v10, v5
.LBB0_6:                                ;   in Loop: Header=BB0_2 Depth=1
	s_or_b64 exec, exec, s[0:1]
	v_mul_lo_u32 v2, v10, s18
	v_mul_lo_u32 v6, v9, s19
	v_mad_u64_u32 v[11:12], s[0:1], v9, s18, 0
	s_load_dwordx2 s[0:1], s[6:7], 0x0
	s_add_u32 s14, s14, 1
	v_add3_u32 v2, v12, v6, v2
	v_sub_co_u32_e32 v6, vcc, v7, v11
	v_subb_co_u32_e32 v2, vcc, v8, v2, vcc
	s_waitcnt lgkmcnt(0)
	v_mul_lo_u32 v2, s0, v2
	v_mul_lo_u32 v7, s1, v6
	v_mad_u64_u32 v[3:4], s[0:1], s0, v6, v[3:4]
	s_addc_u32 s15, s15, 0
	s_add_u32 s6, s6, 8
	v_add3_u32 v4, v7, v4, v2
	v_mov_b32_e32 v6, s10
	v_mov_b32_e32 v7, s11
	s_addc_u32 s7, s7, 0
	v_cmp_ge_u64_e32 vcc, s[14:15], v[6:7]
	s_add_u32 s16, s16, 8
	s_addc_u32 s17, s17, 0
	s_cbranch_vccnz .LBB0_8
; %bb.7:                                ;   in Loop: Header=BB0_2 Depth=1
	v_mov_b32_e32 v7, v9
	v_mov_b32_e32 v8, v10
	s_branch .LBB0_2
.LBB0_8:
	s_lshl_b64 s[0:1], s[10:11], 3
	s_add_u32 s0, s12, s0
	s_addc_u32 s1, s13, s1
	s_load_dwordx2 s[0:1], s[0:1], 0x0
	s_mov_b32 s6, 0x88888889
	v_mul_hi_u32 v2, v1, s6
	s_waitcnt lgkmcnt(0)
	v_mul_lo_u32 v7, s0, v10
	v_mul_lo_u32 v8, s1, v9
	v_mad_u64_u32 v[5:6], s[0:1], s0, v9, v[3:4]
	v_lshrrev_b32_e32 v2, 3, v2
	s_load_dwordx2 s[0:1], s[4:5], 0x20
	v_mul_lo_u32 v2, v2, 15
	s_mov_b32 s4, 0xf0f0f10
	v_mul_hi_u32 v3, v0, s4
	v_add3_u32 v6, v8, v6, v7
	v_sub_u32_e32 v1, v1, v2
	v_mul_u32_u24_e32 v11, 35, v1
	v_mul_u32_u24_e32 v1, 17, v3
	s_waitcnt lgkmcnt(0)
	v_cmp_gt_u64_e32 vcc, s[0:1], v[9:10]
	v_sub_u32_e32 v3, v0, v1
	v_lshlrev_b64 v[0:1], 2, v[5:6]
	v_mov_b32_e32 v4, 0
	v_lshlrev_b32_e32 v27, 2, v11
	v_mov_b32_e32 v2, v3
	s_and_saveexec_b64 s[4:5], vcc
	s_cbranch_execz .LBB0_12
; %bb.9:
	v_mov_b32_e32 v2, s3
	v_add_co_u32_e64 v5, s[0:1], s2, v0
	v_lshlrev_b64 v[7:8], 2, v[3:4]
	v_addc_co_u32_e64 v6, s[0:1], v2, v1, s[0:1]
	v_add_co_u32_e64 v7, s[0:1], v5, v7
	v_addc_co_u32_e64 v8, s[0:1], v6, v8, s[0:1]
	global_load_dword v9, v[7:8], off
	global_load_dword v10, v[7:8], off offset:68
	v_lshlrev_b32_e32 v2, 2, v3
	v_mov_b32_e32 v8, v4
	v_cmp_eq_u32_e64 s[0:1], 16, v3
	v_add3_u32 v2, 0, v27, v2
	v_mov_b32_e32 v7, v3
	s_waitcnt vmcnt(0)
	ds_write2_b32 v2, v9, v10 offset1:17
	s_and_saveexec_b64 s[6:7], s[0:1]
	s_cbranch_execz .LBB0_11
; %bb.10:
	global_load_dword v3, v[5:6], off offset:136
	v_mov_b32_e32 v7, 16
	v_mov_b32_e32 v8, 0
	s_waitcnt vmcnt(0)
	ds_write_b32 v2, v3 offset:72
	v_mov_b32_e32 v3, 16
.LBB0_11:
	s_or_b64 exec, exec, s[6:7]
	v_mov_b32_e32 v2, v3
	v_mov_b32_e32 v3, v7
	;; [unrolled: 1-line block ×3, first 2 shown]
.LBB0_12:
	s_or_b64 exec, exec, s[4:5]
	v_lshl_add_u32 v21, v11, 2, 0
	v_lshlrev_b32_e32 v5, 2, v2
	v_add_u32_e32 v22, v21, v5
	s_waitcnt lgkmcnt(0)
	s_barrier
	v_sub_u32_e32 v6, v21, v5
	ds_read_u16 v7, v22
	ds_read_u16 v9, v6 offset:136
	v_lshlrev_b64 v[3:4], 2, v[3:4]
	v_cmp_ne_u32_e64 s[0:1], 0, v2
	s_waitcnt lgkmcnt(0)
	v_add_f16_e32 v8, v9, v7
	v_sub_f16_e32 v7, v7, v9
	s_and_saveexec_b64 s[4:5], s[0:1]
	s_xor_b64 s[4:5], exec, s[4:5]
	s_cbranch_execz .LBB0_14
; %bb.13:
	v_mov_b32_e32 v10, s9
	v_add_co_u32_e64 v9, s[0:1], s8, v3
	v_addc_co_u32_e64 v10, s[0:1], v10, v4, s[0:1]
	global_load_dword v9, v[9:10], off offset:68
	ds_read_u16 v10, v6 offset:138
	ds_read_u16 v11, v22 offset:2
	s_waitcnt lgkmcnt(0)
	v_add_f16_e32 v12, v10, v11
	v_sub_f16_e32 v10, v11, v10
	s_waitcnt vmcnt(0)
	v_lshrrev_b32_e32 v11, 16, v9
	v_fma_f16 v13, v7, v11, v8
	v_fma_f16 v14, v12, v11, v10
	v_fma_f16 v8, -v7, v11, v8
	v_fma_f16 v10, v12, v11, -v10
	v_fma_f16 v11, -v9, v12, v13
	v_fma_f16 v13, v7, v9, v14
	v_fma_f16 v8, v9, v12, v8
	v_fma_f16 v7, v7, v9, v10
	v_pack_b32_f16 v9, v11, v13
	v_pack_b32_f16 v7, v8, v7
	ds_write_b32 v22, v9
	ds_write_b32 v6, v7 offset:136
                                        ; implicit-def: $vgpr8
                                        ; implicit-def: $vgpr7
.LBB0_14:
	s_andn2_saveexec_b64 s[0:1], s[4:5]
	s_cbranch_execz .LBB0_16
; %bb.15:
	v_pack_b32_f16 v6, v8, v7
	ds_write_b32 v22, v6
	ds_read_b32 v6, v21 offset:68
	s_mov_b32 s4, 0xc0004000
	s_waitcnt lgkmcnt(0)
	v_pk_mul_f16 v6, v6, s4
	ds_write_b32 v21, v6 offset:68
.LBB0_16:
	s_or_b64 exec, exec, s[0:1]
	v_add3_u32 v23, 0, v5, v27
	s_waitcnt lgkmcnt(0)
	s_barrier
	s_barrier
	ds_read_b32 v24, v22
	ds_read2_b32 v[5:6], v23 offset0:2 offset1:4
	ds_read2_b32 v[7:8], v23 offset0:6 offset1:8
	ds_read2_b32 v[13:14], v23 offset0:10 offset1:12
	ds_read2_b32 v[19:20], v23 offset0:14 offset1:16
	ds_read2_b32 v[17:18], v23 offset0:18 offset1:20
	ds_read2_b32 v[15:16], v23 offset0:22 offset1:24
	ds_read2_b32 v[11:12], v23 offset0:26 offset1:28
	ds_read2_b32 v[9:10], v23 offset0:30 offset1:32
	v_cmp_gt_u32_e64 s[0:1], 2, v2
	s_waitcnt lgkmcnt(0)
	s_barrier
	s_and_saveexec_b64 s[4:5], s[0:1]
	s_cbranch_execz .LBB0_18
; %bb.17:
	v_add_f16_sdwa v28, v5, v24 dst_sel:DWORD dst_unused:UNUSED_PAD src0_sel:WORD_1 src1_sel:WORD_1
	v_add_f16_sdwa v28, v28, v6 dst_sel:DWORD dst_unused:UNUSED_PAD src0_sel:DWORD src1_sel:WORD_1
	v_add_f16_sdwa v28, v28, v7 dst_sel:DWORD dst_unused:UNUSED_PAD src0_sel:DWORD src1_sel:WORD_1
	;; [unrolled: 1-line block ×7, first 2 shown]
	v_add_f16_e32 v28, v5, v24
	v_add_f16_e32 v28, v28, v6
	v_add_f16_e32 v28, v28, v7
	v_add_f16_e32 v28, v28, v8
	v_add_f16_e32 v28, v28, v13
	v_add_f16_e32 v28, v28, v14
	v_add_f16_e32 v28, v28, v19
	v_sub_f16_e32 v26, v19, v18
	v_add_f16_sdwa v25, v18, v19 dst_sel:DWORD dst_unused:UNUSED_PAD src0_sel:WORD_1 src1_sel:WORD_1
	v_add_f16_e32 v33, v28, v20
	v_sub_f16_e32 v29, v20, v17
	v_add_f16_sdwa v28, v17, v20 dst_sel:DWORD dst_unused:UNUSED_PAD src0_sel:WORD_1 src1_sel:WORD_1
	v_add_f16_e32 v34, v18, v19
	v_sub_f16_sdwa v31, v19, v18 dst_sel:DWORD dst_unused:UNUSED_PAD src0_sel:WORD_1 src1_sel:WORD_1
	v_add_f16_e32 v30, v17, v20
	v_sub_f16_sdwa v19, v20, v17 dst_sel:DWORD dst_unused:UNUSED_PAD src0_sel:WORD_1 src1_sel:WORD_1
	v_add_f16_sdwa v20, v32, v17 dst_sel:DWORD dst_unused:UNUSED_PAD src0_sel:DWORD src1_sel:WORD_1
	v_add_f16_sdwa v20, v20, v18 dst_sel:DWORD dst_unused:UNUSED_PAD src0_sel:DWORD src1_sel:WORD_1
	v_add_f16_e32 v17, v33, v17
	v_add_f16_e32 v17, v17, v18
	v_add_f16_sdwa v20, v20, v15 dst_sel:DWORD dst_unused:UNUSED_PAD src0_sel:DWORD src1_sel:WORD_1
	v_sub_f16_e32 v33, v14, v15
	v_add_f16_sdwa v35, v15, v14 dst_sel:DWORD dst_unused:UNUSED_PAD src0_sel:WORD_1 src1_sel:WORD_1
	v_add_f16_e32 v37, v15, v14
	v_sub_f16_sdwa v14, v14, v15 dst_sel:DWORD dst_unused:UNUSED_PAD src0_sel:WORD_1 src1_sel:WORD_1
	v_add_f16_sdwa v20, v20, v16 dst_sel:DWORD dst_unused:UNUSED_PAD src0_sel:DWORD src1_sel:WORD_1
	v_add_f16_e32 v15, v17, v15
	v_sub_f16_e32 v18, v13, v16
	v_add_f16_sdwa v32, v16, v13 dst_sel:DWORD dst_unused:UNUSED_PAD src0_sel:WORD_1 src1_sel:WORD_1
	v_add_f16_e32 v36, v16, v13
	v_sub_f16_sdwa v13, v13, v16 dst_sel:DWORD dst_unused:UNUSED_PAD src0_sel:WORD_1 src1_sel:WORD_1
	v_add_f16_e32 v15, v15, v16
	v_sub_f16_e32 v16, v7, v12
	v_add_f16_sdwa v17, v12, v7 dst_sel:DWORD dst_unused:UNUSED_PAD src0_sel:WORD_1 src1_sel:WORD_1
	v_add_f16_e32 v40, v12, v7
	v_sub_f16_sdwa v41, v7, v12 dst_sel:DWORD dst_unused:UNUSED_PAD src0_sel:WORD_1 src1_sel:WORD_1
	v_add_f16_sdwa v7, v20, v11 dst_sel:DWORD dst_unused:UNUSED_PAD src0_sel:DWORD src1_sel:WORD_1
	v_sub_f16_e32 v38, v8, v11
	v_add_f16_sdwa v39, v11, v8 dst_sel:DWORD dst_unused:UNUSED_PAD src0_sel:WORD_1 src1_sel:WORD_1
	v_add_f16_e32 v42, v11, v8
	v_sub_f16_sdwa v8, v8, v11 dst_sel:DWORD dst_unused:UNUSED_PAD src0_sel:WORD_1 src1_sel:WORD_1
	v_add_f16_sdwa v7, v7, v12 dst_sel:DWORD dst_unused:UNUSED_PAD src0_sel:DWORD src1_sel:WORD_1
	v_add_f16_e32 v11, v15, v11
	v_add_f16_e32 v11, v11, v12
	v_sub_f16_e32 v12, v5, v10
	v_add_f16_sdwa v15, v10, v5 dst_sel:DWORD dst_unused:UNUSED_PAD src0_sel:WORD_1 src1_sel:WORD_1
	v_add_f16_e32 v44, v10, v5
	v_sub_f16_sdwa v45, v5, v10 dst_sel:DWORD dst_unused:UNUSED_PAD src0_sel:WORD_1 src1_sel:WORD_1
	v_add_f16_sdwa v5, v7, v9 dst_sel:DWORD dst_unused:UNUSED_PAD src0_sel:DWORD src1_sel:WORD_1
	v_sub_f16_e32 v20, v6, v9
	v_add_f16_sdwa v43, v9, v6 dst_sel:DWORD dst_unused:UNUSED_PAD src0_sel:WORD_1 src1_sel:WORD_1
	v_add_f16_e32 v46, v9, v6
	v_sub_f16_sdwa v47, v6, v9 dst_sel:DWORD dst_unused:UNUSED_PAD src0_sel:WORD_1 src1_sel:WORD_1
	v_add_f16_sdwa v6, v5, v10 dst_sel:WORD_1 dst_unused:UNUSED_PAD src0_sel:DWORD src1_sel:WORD_1
	v_add_f16_e32 v5, v11, v9
	s_movk_i32 s0, 0x39e9
	v_mul_f16_e32 v9, 0xb964, v12
	v_add_f16_e32 v7, v5, v10
	v_mul_u32_u24_e32 v5, 0x44, v2
	s_movk_i32 s11, 0x2de8
	v_fma_f16 v10, v15, s0, v9
	v_mul_f16_e32 v11, 0xbbf7, v20
	v_add3_u32 v5, 0, v5, v27
	v_add_f16_sdwa v10, v10, v24 dst_sel:DWORD dst_unused:UNUSED_PAD src0_sel:DWORD src1_sel:WORD_1
	v_fma_f16 v27, v43, s11, v11
	v_add_f16_e32 v10, v27, v10
	s_mov_b32 s1, 0xb8d2
	v_mul_f16_e32 v27, 0xba62, v16
	v_fma_f16 v48, v17, s1, v27
	v_add_f16_e32 v10, v48, v10
	s_mov_b32 s6, 0xbbdd
	v_mul_f16_e32 v48, 0xb1e1, v38
	;; [unrolled: 4-line block ×4, first 2 shown]
	v_fma_f16 v51, v35, s10, v50
	v_add_f16_e32 v10, v51, v10
	s_movk_i32 s12, 0x3722
	v_mul_f16_e32 v51, 0x3b29, v26
	v_fma_f16 v52, v25, s12, v51
	v_add_f16_e32 v10, v52, v10
	s_movk_i32 s13, 0x3b76
	v_mul_f16_e32 v52, 0x35c8, v29
	v_fma_f16 v53, v28, s13, v52
	v_add_f16_e32 v10, v53, v10
	v_mul_f16_e32 v53, 0xb964, v45
	v_fma_f16 v54, v44, s0, -v53
	v_mul_f16_e32 v55, 0xbbf7, v47
	v_add_f16_e32 v54, v54, v24
	v_fma_f16 v56, v46, s11, -v55
	v_add_f16_e32 v54, v56, v54
	v_mul_f16_e32 v56, 0xba62, v41
	v_fma_f16 v57, v40, s1, -v56
	v_add_f16_e32 v54, v57, v54
	v_mul_f16_e32 v57, 0xb1e1, v8
	;; [unrolled: 3-line block ×7, first 2 shown]
	v_fma_f16 v63, v15, s13, v62
	v_mul_f16_e32 v64, 0xb964, v20
	v_add_f16_sdwa v63, v63, v24 dst_sel:DWORD dst_unused:UNUSED_PAD src0_sel:DWORD src1_sel:WORD_1
	v_fma_f16 v65, v43, s0, v64
	v_add_f16_e32 v63, v65, v63
	v_mul_f16_e32 v65, 0xbb29, v16
	v_fma_f16 v66, v17, s12, v65
	v_add_f16_e32 v63, v66, v63
	v_mul_f16_e32 v66, 0xbbf7, v38
	;; [unrolled: 3-line block ×7, first 2 shown]
	v_fma_f16 v72, v44, s13, -v71
	v_mul_f16_e32 v73, 0xb964, v47
	v_add_f16_e32 v72, v72, v24
	v_fma_f16 v74, v46, s0, -v73
	v_add_f16_e32 v72, v74, v72
	v_mul_f16_e32 v74, 0xbb29, v41
	v_fma_f16 v75, v40, s12, -v74
	v_add_f16_e32 v72, v75, v72
	v_mul_f16_e32 v75, 0xbbf7, v8
	;; [unrolled: 3-line block ×6, first 2 shown]
	v_fma_f16 v80, v30, s6, -v79
	v_add_f16_e32 v72, v80, v72
	v_pack_b32_f16 v10, v54, v10
	v_pack_b32_f16 v54, v72, v63
	ds_write2_b32 v5, v54, v10 offset0:1 offset1:2
	v_mul_f16_e32 v10, 0xbbf7, v12
	v_fma_f16 v54, v15, s11, v10
	v_mul_f16_e32 v63, 0xb1e1, v20
	v_add_f16_sdwa v54, v54, v24 dst_sel:DWORD dst_unused:UNUSED_PAD src0_sel:DWORD src1_sel:WORD_1
	v_fma_f16 v72, v43, s6, v63
	v_add_f16_e32 v54, v72, v54
	v_mul_f16_e32 v72, 0x3bb2, v16
	v_fma_f16 v80, v17, s10, v72
	v_add_f16_e32 v54, v80, v54
	v_mul_f16_e32 v80, 0x35c8, v38
	;; [unrolled: 3-line block ×7, first 2 shown]
	v_fma_f16 v86, v44, s11, -v85
	v_mul_f16_e32 v87, 0xb1e1, v47
	v_add_f16_e32 v86, v86, v24
	v_fma_f16 v88, v46, s6, -v87
	v_add_f16_e32 v86, v88, v86
	v_mul_f16_e32 v88, 0x3bb2, v41
	v_fma_f16 v89, v40, s10, -v88
	v_add_f16_e32 v86, v89, v86
	v_mul_f16_e32 v89, 0x35c8, v8
	;; [unrolled: 3-line block ×7, first 2 shown]
	v_fma_f16 v95, v15, s12, v94
	v_mul_f16_e32 v96, 0xba62, v20
	v_add_f16_sdwa v95, v95, v24 dst_sel:DWORD dst_unused:UNUSED_PAD src0_sel:DWORD src1_sel:WORD_1
	v_fma_f16 v97, v43, s1, v96
	v_add_f16_e32 v95, v97, v95
	v_mul_f16_e32 v97, 0x31e1, v16
	v_fma_f16 v98, v17, s6, v97
	v_add_f16_e32 v95, v98, v95
	v_mul_f16_e32 v98, 0x3bb2, v38
	;; [unrolled: 3-line block ×7, first 2 shown]
	v_fma_f16 v104, v44, s12, -v103
	v_mul_f16_e32 v105, 0xba62, v47
	v_add_f16_e32 v104, v104, v24
	v_fma_f16 v106, v46, s1, -v105
	v_add_f16_e32 v104, v106, v104
	v_mul_f16_e32 v106, 0x31e1, v41
	v_fma_f16 v107, v40, s6, -v106
	v_add_f16_e32 v104, v107, v104
	v_mul_f16_e32 v107, 0x3bb2, v8
	v_fma_f16 v108, v42, s10, -v107
	v_add_f16_e32 v104, v108, v104
	v_mul_f16_e32 v108, 0x3964, v13
	v_fma_f16 v109, v36, s0, -v108
	v_add_f16_e32 v104, v109, v104
	v_mul_f16_e32 v109, 0xb5c8, v14
	v_fma_f16 v110, v37, s13, -v109
	v_add_f16_e32 v104, v110, v104
	v_mul_f16_e32 v110, 0xbbf7, v31
	v_fma_f16 v111, v34, s11, -v110
	v_add_f16_e32 v104, v111, v104
	v_mul_f16_e32 v111, 0xb836, v19
	v_fma_f16 v112, v30, s7, -v111
	v_add_f16_e32 v104, v112, v104
	v_pack_b32_f16 v54, v86, v54
	v_pack_b32_f16 v86, v104, v95
	ds_write2_b32 v5, v86, v54 offset0:3 offset1:4
	v_mul_f16_e32 v54, 0xba62, v12
	v_fma_f16 v86, v15, s1, v54
	v_mul_f16_e32 v95, 0x3bb2, v20
	v_add_f16_sdwa v86, v86, v24 dst_sel:DWORD dst_unused:UNUSED_PAD src0_sel:DWORD src1_sel:WORD_1
	v_fma_f16 v104, v43, s10, v95
	v_add_f16_e32 v86, v104, v86
	v_mul_f16_e32 v104, 0xb5c8, v16
	v_fma_f16 v112, v17, s13, v104
	v_add_f16_e32 v86, v112, v86
	v_mul_f16_e32 v112, 0xb836, v38
	;; [unrolled: 3-line block ×7, first 2 shown]
	v_fma_f16 v118, v44, s1, -v117
	v_mul_f16_e32 v119, 0x3bb2, v47
	v_add_f16_e32 v118, v118, v24
	v_fma_f16 v120, v46, s10, -v119
	v_add_f16_e32 v118, v120, v118
	v_mul_f16_e32 v120, 0xb5c8, v41
	v_fma_f16 v121, v40, s13, -v120
	v_add_f16_e32 v118, v121, v118
	v_mul_f16_e32 v121, 0xb836, v8
	;; [unrolled: 3-line block ×7, first 2 shown]
	v_fma_f16 v127, v15, s10, v126
	v_mul_f16_e32 v128, 0x3836, v20
	v_add_f16_sdwa v127, v127, v24 dst_sel:DWORD dst_unused:UNUSED_PAD src0_sel:DWORD src1_sel:WORD_1
	v_fma_f16 v129, v43, s7, v128
	v_add_f16_e32 v127, v129, v127
	v_mul_f16_e32 v129, 0x3964, v16
	v_fma_f16 v130, v17, s0, v129
	v_add_f16_e32 v127, v130, v127
	v_mul_f16_e32 v130, 0xbb29, v38
	;; [unrolled: 3-line block ×7, first 2 shown]
	v_fma_f16 v136, v44, s10, -v135
	v_mul_f16_e32 v137, 0x3836, v47
	v_add_f16_e32 v136, v136, v24
	v_fma_f16 v138, v46, s7, -v137
	v_add_f16_e32 v136, v138, v136
	v_mul_f16_e32 v138, 0x3964, v41
	v_fma_f16 v139, v40, s0, -v138
	v_add_f16_e32 v136, v139, v136
	v_mul_f16_e32 v139, 0xbb29, v8
	;; [unrolled: 3-line block ×6, first 2 shown]
	v_fma_f16 v144, v30, s1, -v143
	v_add_f16_e32 v136, v144, v136
	v_pack_b32_f16 v86, v118, v86
	v_pack_b32_f16 v118, v136, v127
	ds_write2_b32 v5, v118, v86 offset0:5 offset1:6
	v_mul_f16_e32 v86, 0xb836, v45
	v_fma_f16 v118, v44, s7, -v86
	v_fma_f16 v86, v44, s7, v86
	v_fma_f16 v117, v44, s1, v117
	;; [unrolled: 1-line block ×7, first 2 shown]
	v_pack_b32_f16 v44, v12, v44
	v_mul_f16_e32 v12, 0xb836, v12
	v_fma_f16 v135, v15, s7, v12
	v_fma_f16 v12, v15, s7, -v12
	v_fma_f16 v54, v15, s1, -v54
	;; [unrolled: 1-line block ×7, first 2 shown]
	v_pack_b32_f16 v15, v15, v45
	v_mul_f16_e32 v45, 0x3b29, v47
	v_fma_f16 v136, v46, s12, -v45
	v_fma_f16 v45, v46, s12, v45
	v_fma_f16 v119, v46, s10, v119
	;; [unrolled: 1-line block ×7, first 2 shown]
	v_pack_b32_f16 v46, v20, v46
	v_mul_f16_e32 v20, 0x3b29, v20
	s_mov_b32 s15, 0xb1e1bbdd
	v_fma_f16 v144, v43, s12, v20
	v_fma_f16 v20, v43, s12, -v20
	v_fma_f16 v95, v43, s10, -v95
	;; [unrolled: 1-line block ×7, first 2 shown]
	v_pack_b32_f16 v43, v43, v47
	s_mov_b32 s14, 0xbbddb1e1
	v_pk_mul_f16 v15, v15, s15
	s_mov_b32 s16, 0x35c83b76
	v_pk_fma_f16 v47, v44, s14, v15 neg_lo:[0,0,1] neg_hi:[0,0,1]
	s_mov_b32 s15, 0x3b7635c8
	v_pk_mul_f16 v43, v43, s16
	v_pk_add_f16 v47, v47, v24 op_sel:[0,1] op_sel_hi:[1,0]
	v_pk_fma_f16 v145, v46, s15, v43 neg_lo:[0,0,1] neg_hi:[0,0,1]
	v_pk_add_f16 v47, v145, v47
	v_mul_f16_e32 v145, 0xbbf7, v41
	v_fma_f16 v146, v40, s11, -v145
	v_fma_f16 v145, v40, s11, v145
	v_fma_f16 v120, v40, s13, v120
	;; [unrolled: 1-line block ×7, first 2 shown]
	v_pack_b32_f16 v40, v16, v40
	v_mul_f16_e32 v16, 0xbbf7, v16
	v_fma_f16 v147, v17, s11, v16
	v_fma_f16 v16, v17, s11, -v16
	v_fma_f16 v104, v17, s13, -v104
	;; [unrolled: 1-line block ×7, first 2 shown]
	v_pack_b32_f16 v17, v17, v41
	s_mov_b32 s17, 0xb836bacd
	s_mov_b32 s16, 0xbacdb836
	v_pk_mul_f16 v17, v17, s17
	v_pk_fma_f16 v41, v40, s16, v17 neg_lo:[0,0,1] neg_hi:[0,0,1]
	v_pk_add_f16 v41, v41, v47
	v_mul_f16_e32 v47, 0x3a62, v8
	v_pack_b32_f16 v8, v39, v8
	s_mov_b32 s18, 0x396439e9
	v_fma_f16 v148, v42, s1, -v47
	v_fma_f16 v47, v42, s1, v47
	v_fma_f16 v121, v42, s7, v121
	v_fma_f16 v139, v42, s12, v139
	v_fma_f16 v89, v42, s13, v89
	v_fma_f16 v107, v42, s10, v107
	v_fma_f16 v57, v42, s6, v57
	v_fma_f16 v75, v42, s11, v75
	v_pack_b32_f16 v42, v38, v42
	v_mul_f16_e32 v38, 0x3a62, v38
	s_mov_b32 s17, 0x39e93964
	v_pk_mul_f16 v8, v8, s18
	v_fma_f16 v149, v39, s1, v38
	v_fma_f16 v38, v39, s1, -v38
	v_fma_f16 v112, v39, s7, -v112
	v_fma_f16 v130, v39, s12, -v130
	v_fma_f16 v80, v39, s13, -v80
	v_fma_f16 v98, v39, s10, -v98
	v_fma_f16 v48, v39, s6, -v48
	v_fma_f16 v66, v39, s11, -v66
	v_pk_fma_f16 v39, v42, s17, v8 neg_lo:[0,0,1] neg_hi:[0,0,1]
	v_pk_add_f16 v39, v39, v41
	v_mul_f16_e32 v41, 0xb5c8, v13
	v_pack_b32_f16 v13, v32, v13
	s_mov_b32 s19, 0xba62b8d2
	v_fma_f16 v150, v36, s13, -v41
	v_fma_f16 v41, v36, s13, v41
	v_fma_f16 v122, v36, s11, v122
	v_fma_f16 v140, v36, s6, v140
	v_fma_f16 v90, v36, s12, v90
	v_fma_f16 v108, v36, s0, v108
	v_fma_f16 v58, v36, s7, v58
	v_fma_f16 v76, v36, s10, v76
	v_pack_b32_f16 v36, v18, v36
	v_mul_f16_e32 v18, 0xb5c8, v18
	s_mov_b32 s18, 0xb8d2ba62
	v_pk_mul_f16 v13, v13, s19
	v_fma_f16 v151, v32, s13, v18
	v_fma_f16 v18, v32, s13, -v18
	v_fma_f16 v113, v32, s11, -v113
	v_fma_f16 v131, v32, s6, -v131
	v_fma_f16 v81, v32, s12, -v81
	v_fma_f16 v99, v32, s0, -v99
	v_fma_f16 v49, v32, s7, -v49
	v_fma_f16 v67, v32, s10, -v67
	;; [unrolled: 25-line block ×3, first 2 shown]
	v_pk_fma_f16 v35, v37, s19, v14 neg_lo:[0,0,1] neg_hi:[0,0,1]
	v_pk_add_f16 v32, v35, v32
	v_mul_f16_e32 v35, 0x3964, v31
	v_fma_f16 v154, v34, s0, -v35
	v_fma_f16 v35, v34, s0, v35
	v_fma_f16 v124, v34, s6, v124
	;; [unrolled: 1-line block ×7, first 2 shown]
	v_pack_b32_f16 v34, v26, v34
	v_mul_f16_e32 v26, 0x3964, v26
	v_fma_f16 v155, v25, s0, v26
	v_fma_f16 v26, v25, s0, -v26
	v_fma_f16 v115, v25, s6, -v115
	;; [unrolled: 1-line block ×7, first 2 shown]
	v_pack_b32_f16 v25, v25, v31
	s_mov_b32 s20, 0xbbb2b461
	s_mov_b32 s11, 0xb461bbb2
	v_pk_mul_f16 v25, v25, s20
	v_pk_fma_f16 v31, v34, s11, v25 neg_lo:[0,0,1] neg_hi:[0,0,1]
	v_pk_add_f16 v31, v31, v32
	v_mul_f16_e32 v32, 0xbbb2, v19
	v_fma_f16 v143, v30, s1, v143
	v_fma_f16 v134, v28, s1, -v134
	v_pack_b32_f16 v19, v28, v19
	s_mov_b32 s1, 0x3bf72de8
	v_fma_f16 v156, v30, s10, -v32
	v_fma_f16 v32, v30, s10, v32
	v_fma_f16 v125, v30, s12, v125
	;; [unrolled: 1-line block ×6, first 2 shown]
	v_pack_b32_f16 v30, v29, v30
	v_mul_f16_e32 v29, 0xbbb2, v29
	v_fma_f16 v84, v28, s0, -v84
	s_mov_b32 s0, 0x2de83bf7
	v_pk_mul_f16 v19, v19, s1
	v_fma_f16 v157, v28, s10, v29
	v_fma_f16 v29, v28, s10, -v29
	v_fma_f16 v116, v28, s12, -v116
	;; [unrolled: 1-line block ×5, first 2 shown]
	v_pk_fma_f16 v28, v30, s0, v19 neg_lo:[0,0,1] neg_hi:[0,0,1]
	v_pk_add_f16 v28, v28, v31
	v_add_f16_sdwa v31, v135, v24 dst_sel:DWORD dst_unused:UNUSED_PAD src0_sel:DWORD src1_sel:WORD_1
	v_add_f16_e32 v118, v118, v24
	v_pk_fma_f16 v135, v44, s14, v15 neg_lo:[1,0,0] neg_hi:[1,0,0]
	v_pk_fma_f16 v15, v44, s14, v15
	v_add_f16_e32 v118, v136, v118
	v_pk_add_f16 v135, v135, v24 op_sel:[0,1] op_sel_hi:[1,0]
	v_pk_fma_f16 v136, v46, s15, v43 neg_lo:[1,0,0] neg_hi:[1,0,0]
	v_pk_fma_f16 v43, v46, s15, v43
	v_pk_add_f16 v15, v15, v24 op_sel:[0,1] op_sel_hi:[1,0]
	v_pk_add_f16 v135, v136, v135
	v_pk_fma_f16 v136, v40, s16, v17 neg_lo:[1,0,0] neg_hi:[1,0,0]
	v_pk_add_f16 v15, v43, v15
	v_pk_fma_f16 v17, v40, s16, v17
	v_pk_add_f16 v135, v136, v135
	v_pk_fma_f16 v136, v42, s17, v8 neg_lo:[1,0,0] neg_hi:[1,0,0]
	v_pk_add_f16 v15, v17, v15
	v_pk_fma_f16 v8, v42, s17, v8
	;; [unrolled: 4-line block ×3, first 2 shown]
	v_pk_add_f16 v8, v13, v8
	v_pk_fma_f16 v13, v37, s19, v14
	v_add_f16_sdwa v12, v12, v24 dst_sel:DWORD dst_unused:UNUSED_PAD src0_sel:DWORD src1_sel:WORD_1
	v_pk_add_f16 v8, v13, v8
	v_pk_fma_f16 v13, v34, s11, v25
	v_add_f16_e32 v12, v20, v12
	v_add_f16_e32 v31, v144, v31
	v_pk_add_f16 v8, v13, v8
	v_pk_fma_f16 v13, v30, s0, v19
	v_add_f16_e32 v12, v16, v12
	v_add_f16_e32 v31, v147, v31
	;; [unrolled: 1-line block ×3, first 2 shown]
	v_pk_add_f16 v135, v136, v135
	v_pk_fma_f16 v136, v37, s19, v14 neg_lo:[1,0,0] neg_hi:[1,0,0]
	v_pk_add_f16 v8, v13, v8
	v_add_f16_e32 v12, v38, v12
	v_add_f16_e32 v13, v86, v24
	v_add_f16_sdwa v14, v54, v24 dst_sel:DWORD dst_unused:UNUSED_PAD src0_sel:DWORD src1_sel:WORD_1
	v_add_f16_e32 v15, v117, v24
	v_add_f16_e32 v31, v149, v31
	;; [unrolled: 1-line block ×3, first 2 shown]
	v_pk_add_f16 v135, v136, v135
	v_pk_fma_f16 v136, v34, s11, v25 neg_lo:[1,0,0] neg_hi:[1,0,0]
	v_add_f16_e32 v12, v18, v12
	v_add_f16_e32 v13, v45, v13
	;; [unrolled: 1-line block ×4, first 2 shown]
	v_add_f16_sdwa v16, v126, v24 dst_sel:DWORD dst_unused:UNUSED_PAD src0_sel:DWORD src1_sel:WORD_1
	v_add_f16_e32 v17, v127, v24
	v_add_f16_sdwa v10, v10, v24 dst_sel:DWORD dst_unused:UNUSED_PAD src0_sel:DWORD src1_sel:WORD_1
	v_add_f16_e32 v18, v85, v24
	;; [unrolled: 2-line block ×3, first 2 shown]
	v_add_f16_e32 v118, v150, v118
	v_pk_add_f16 v135, v136, v135
	v_pk_fma_f16 v136, v30, s0, v19 neg_lo:[1,0,0] neg_hi:[1,0,0]
	v_add_f16_e32 v13, v145, v13
	v_add_f16_e32 v14, v104, v14
	v_add_f16_e32 v15, v120, v15
	v_add_f16_e32 v16, v128, v16
	v_add_f16_e32 v17, v137, v17
	v_add_f16_e32 v10, v63, v10
	v_add_f16_e32 v18, v87, v18
	v_add_f16_sdwa v19, v94, v24 dst_sel:DWORD dst_unused:UNUSED_PAD src0_sel:DWORD src1_sel:WORD_1
	v_add_f16_e32 v20, v103, v24
	v_add_f16_e32 v9, v11, v9
	v_add_f16_e32 v11, v53, v24
	v_add_f16_e32 v31, v153, v31
	v_add_f16_e32 v118, v152, v118
	v_add_f16_e32 v13, v47, v13
	v_add_f16_e32 v14, v112, v14
	v_add_f16_e32 v15, v121, v15
	v_add_f16_e32 v16, v129, v16
	v_add_f16_e32 v17, v138, v17
	v_add_f16_e32 v10, v72, v10
	v_add_f16_e32 v18, v88, v18
	v_add_f16_e32 v19, v96, v19
	v_add_f16_e32 v20, v105, v20
	v_add_f16_e32 v11, v55, v11
	v_add_f16_sdwa v25, v62, v24 dst_sel:DWORD dst_unused:UNUSED_PAD src0_sel:DWORD src1_sel:WORD_1
	v_add_f16_e32 v24, v71, v24
	v_add_f16_e32 v31, v155, v31
	;; [unrolled: 1-line block ×32, first 2 shown]
	v_pk_add_f16 v135, v136, v135
	v_add_f16_e32 v12, v26, v12
	v_add_f16_e32 v13, v35, v13
	;; [unrolled: 1-line block ×14, first 2 shown]
	v_or_b32_e32 v6, v6, v7
	v_pack_b32_f16 v7, v118, v31
	v_add_f16_e32 v12, v29, v12
	v_add_f16_e32 v13, v32, v13
	;; [unrolled: 1-line block ×14, first 2 shown]
	ds_write2_b32 v5, v6, v7 offset1:7
	v_alignbit_b32 v6, v135, v8, 16
	v_alignbit_b32 v7, v8, v28, 16
	v_add_f16_e32 v16, v134, v16
	v_add_f16_e32 v17, v143, v17
	;; [unrolled: 1-line block ×10, first 2 shown]
	ds_write2_b32 v5, v7, v6 offset0:8 offset1:9
	v_pack_b32_f16 v6, v15, v14
	v_pack_b32_f16 v7, v13, v12
	v_add_f16_e32 v19, v102, v19
	v_add_f16_e32 v20, v111, v20
	;; [unrolled: 1-line block ×6, first 2 shown]
	ds_write2_b32 v5, v7, v6 offset0:10 offset1:11
	v_pack_b32_f16 v6, v18, v10
	v_pack_b32_f16 v7, v17, v16
	v_add_f16_e32 v25, v70, v25
	v_add_f16_e32 v24, v79, v24
	ds_write2_b32 v5, v7, v6 offset0:12 offset1:13
	v_pack_b32_f16 v6, v11, v9
	v_pack_b32_f16 v7, v20, v19
	ds_write2_b32 v5, v7, v6 offset0:14 offset1:15
	v_pack_b32_f16 v6, v24, v25
	ds_write_b32 v5, v6 offset:64
.LBB0_18:
	s_or_b64 exec, exec, s[4:5]
	v_mov_b32_e32 v5, s9
	v_add_co_u32_e64 v3, s[0:1], s8, v3
	v_addc_co_u32_e64 v4, s[0:1], v5, v4, s[0:1]
	s_waitcnt lgkmcnt(0)
	s_barrier
	global_load_dword v3, v[3:4], off
	ds_read_b32 v4, v22
	ds_read_b32 v5, v23 offset:68
	s_mov_b32 s0, 0xffff
	s_waitcnt vmcnt(0) lgkmcnt(0)
	s_barrier
	v_lshrrev_b32_e32 v6, 16, v4
	v_pk_mul_f16 v7, v3, v5 op_sel:[0,1]
	v_pk_fma_f16 v8, v3, v5, v7 op_sel:[0,0,1] op_sel_hi:[1,1,0] neg_lo:[0,0,1] neg_hi:[0,0,1]
	v_pk_fma_f16 v3, v3, v5, v7 op_sel:[0,0,1] op_sel_hi:[1,0,0]
	v_bfi_b32 v3, s0, v8, v3
	v_pk_add_f16 v3, v4, v3 neg_lo:[0,1] neg_hi:[0,1]
	v_lshrrev_b32_e32 v5, 16, v3
	v_fma_f16 v5, v6, 2.0, -v5
	v_fma_f16 v4, v4, 2.0, -v3
	v_lshlrev_b32_e32 v5, 16, v5
	v_or_b32_sdwa v4, v5, v4 dst_sel:DWORD dst_unused:UNUSED_PAD src0_sel:DWORD src1_sel:WORD_0
	ds_write2_b32 v23, v4, v3 offset1:17
	s_waitcnt lgkmcnt(0)
	s_barrier
	s_and_saveexec_b64 s[0:1], vcc
	s_cbranch_execz .LBB0_20
; %bb.19:
	v_lshl_add_u32 v4, v2, 2, v21
	v_mov_b32_e32 v3, 0
	ds_read2_b32 v[4:5], v4 offset1:17
	v_mov_b32_e32 v6, s3
	v_add_co_u32_e32 v7, vcc, s2, v0
	v_addc_co_u32_e32 v6, vcc, v6, v1, vcc
	v_lshlrev_b64 v[0:1], 2, v[2:3]
	v_add_u32_e32 v2, 17, v2
	v_add_co_u32_e32 v0, vcc, v7, v0
	v_addc_co_u32_e32 v1, vcc, v6, v1, vcc
	s_waitcnt lgkmcnt(0)
	global_store_dword v[0:1], v4, off
	v_lshlrev_b64 v[0:1], 2, v[2:3]
	v_add_co_u32_e32 v0, vcc, v7, v0
	v_addc_co_u32_e32 v1, vcc, v6, v1, vcc
	global_store_dword v[0:1], v5, off
.LBB0_20:
	s_endpgm
	.section	.rodata,"a",@progbits
	.p2align	6, 0x0
	.amdhsa_kernel fft_rtc_fwd_len34_factors_17_2_wgs_255_tpt_17_halfLds_half_ip_CI_unitstride_sbrr_C2R_dirReg
		.amdhsa_group_segment_fixed_size 0
		.amdhsa_private_segment_fixed_size 0
		.amdhsa_kernarg_size 88
		.amdhsa_user_sgpr_count 6
		.amdhsa_user_sgpr_private_segment_buffer 1
		.amdhsa_user_sgpr_dispatch_ptr 0
		.amdhsa_user_sgpr_queue_ptr 0
		.amdhsa_user_sgpr_kernarg_segment_ptr 1
		.amdhsa_user_sgpr_dispatch_id 0
		.amdhsa_user_sgpr_flat_scratch_init 0
		.amdhsa_user_sgpr_private_segment_size 0
		.amdhsa_uses_dynamic_stack 0
		.amdhsa_system_sgpr_private_segment_wavefront_offset 0
		.amdhsa_system_sgpr_workgroup_id_x 1
		.amdhsa_system_sgpr_workgroup_id_y 0
		.amdhsa_system_sgpr_workgroup_id_z 0
		.amdhsa_system_sgpr_workgroup_info 0
		.amdhsa_system_vgpr_workitem_id 0
		.amdhsa_next_free_vgpr 158
		.amdhsa_next_free_sgpr 22
		.amdhsa_reserve_vcc 1
		.amdhsa_reserve_flat_scratch 0
		.amdhsa_float_round_mode_32 0
		.amdhsa_float_round_mode_16_64 0
		.amdhsa_float_denorm_mode_32 3
		.amdhsa_float_denorm_mode_16_64 3
		.amdhsa_dx10_clamp 1
		.amdhsa_ieee_mode 1
		.amdhsa_fp16_overflow 0
		.amdhsa_exception_fp_ieee_invalid_op 0
		.amdhsa_exception_fp_denorm_src 0
		.amdhsa_exception_fp_ieee_div_zero 0
		.amdhsa_exception_fp_ieee_overflow 0
		.amdhsa_exception_fp_ieee_underflow 0
		.amdhsa_exception_fp_ieee_inexact 0
		.amdhsa_exception_int_div_zero 0
	.end_amdhsa_kernel
	.text
.Lfunc_end0:
	.size	fft_rtc_fwd_len34_factors_17_2_wgs_255_tpt_17_halfLds_half_ip_CI_unitstride_sbrr_C2R_dirReg, .Lfunc_end0-fft_rtc_fwd_len34_factors_17_2_wgs_255_tpt_17_halfLds_half_ip_CI_unitstride_sbrr_C2R_dirReg
                                        ; -- End function
	.section	.AMDGPU.csdata,"",@progbits
; Kernel info:
; codeLenInByte = 7028
; NumSgprs: 26
; NumVgprs: 158
; ScratchSize: 0
; MemoryBound: 0
; FloatMode: 240
; IeeeMode: 1
; LDSByteSize: 0 bytes/workgroup (compile time only)
; SGPRBlocks: 3
; VGPRBlocks: 39
; NumSGPRsForWavesPerEU: 26
; NumVGPRsForWavesPerEU: 158
; Occupancy: 1
; WaveLimiterHint : 1
; COMPUTE_PGM_RSRC2:SCRATCH_EN: 0
; COMPUTE_PGM_RSRC2:USER_SGPR: 6
; COMPUTE_PGM_RSRC2:TRAP_HANDLER: 0
; COMPUTE_PGM_RSRC2:TGID_X_EN: 1
; COMPUTE_PGM_RSRC2:TGID_Y_EN: 0
; COMPUTE_PGM_RSRC2:TGID_Z_EN: 0
; COMPUTE_PGM_RSRC2:TIDIG_COMP_CNT: 0
	.type	__hip_cuid_da819872b9bf7107,@object ; @__hip_cuid_da819872b9bf7107
	.section	.bss,"aw",@nobits
	.globl	__hip_cuid_da819872b9bf7107
__hip_cuid_da819872b9bf7107:
	.byte	0                               ; 0x0
	.size	__hip_cuid_da819872b9bf7107, 1

	.ident	"AMD clang version 19.0.0git (https://github.com/RadeonOpenCompute/llvm-project roc-6.4.0 25133 c7fe45cf4b819c5991fe208aaa96edf142730f1d)"
	.section	".note.GNU-stack","",@progbits
	.addrsig
	.addrsig_sym __hip_cuid_da819872b9bf7107
	.amdgpu_metadata
---
amdhsa.kernels:
  - .args:
      - .actual_access:  read_only
        .address_space:  global
        .offset:         0
        .size:           8
        .value_kind:     global_buffer
      - .offset:         8
        .size:           8
        .value_kind:     by_value
      - .actual_access:  read_only
        .address_space:  global
        .offset:         16
        .size:           8
        .value_kind:     global_buffer
      - .actual_access:  read_only
        .address_space:  global
        .offset:         24
        .size:           8
        .value_kind:     global_buffer
      - .offset:         32
        .size:           8
        .value_kind:     by_value
      - .actual_access:  read_only
        .address_space:  global
        .offset:         40
        .size:           8
        .value_kind:     global_buffer
      - .actual_access:  read_only
        .address_space:  global
        .offset:         48
        .size:           8
        .value_kind:     global_buffer
      - .offset:         56
        .size:           4
        .value_kind:     by_value
      - .actual_access:  read_only
        .address_space:  global
        .offset:         64
        .size:           8
        .value_kind:     global_buffer
      - .actual_access:  read_only
        .address_space:  global
        .offset:         72
        .size:           8
        .value_kind:     global_buffer
      - .address_space:  global
        .offset:         80
        .size:           8
        .value_kind:     global_buffer
    .group_segment_fixed_size: 0
    .kernarg_segment_align: 8
    .kernarg_segment_size: 88
    .language:       OpenCL C
    .language_version:
      - 2
      - 0
    .max_flat_workgroup_size: 255
    .name:           fft_rtc_fwd_len34_factors_17_2_wgs_255_tpt_17_halfLds_half_ip_CI_unitstride_sbrr_C2R_dirReg
    .private_segment_fixed_size: 0
    .sgpr_count:     26
    .sgpr_spill_count: 0
    .symbol:         fft_rtc_fwd_len34_factors_17_2_wgs_255_tpt_17_halfLds_half_ip_CI_unitstride_sbrr_C2R_dirReg.kd
    .uniform_work_group_size: 1
    .uses_dynamic_stack: false
    .vgpr_count:     158
    .vgpr_spill_count: 0
    .wavefront_size: 64
amdhsa.target:   amdgcn-amd-amdhsa--gfx906
amdhsa.version:
  - 1
  - 2
...

	.end_amdgpu_metadata
